;; amdgpu-corpus repo=ROCm/rocFFT kind=compiled arch=gfx1030 opt=O3
	.text
	.amdgcn_target "amdgcn-amd-amdhsa--gfx1030"
	.amdhsa_code_object_version 6
	.protected	fft_rtc_fwd_len1584_factors_4_2_2_11_3_3_wgs_176_tpt_176_halfLds_half_ip_CI_unitstride_sbrr_dirReg ; -- Begin function fft_rtc_fwd_len1584_factors_4_2_2_11_3_3_wgs_176_tpt_176_halfLds_half_ip_CI_unitstride_sbrr_dirReg
	.globl	fft_rtc_fwd_len1584_factors_4_2_2_11_3_3_wgs_176_tpt_176_halfLds_half_ip_CI_unitstride_sbrr_dirReg
	.p2align	8
	.type	fft_rtc_fwd_len1584_factors_4_2_2_11_3_3_wgs_176_tpt_176_halfLds_half_ip_CI_unitstride_sbrr_dirReg,@function
fft_rtc_fwd_len1584_factors_4_2_2_11_3_3_wgs_176_tpt_176_halfLds_half_ip_CI_unitstride_sbrr_dirReg: ; @fft_rtc_fwd_len1584_factors_4_2_2_11_3_3_wgs_176_tpt_176_halfLds_half_ip_CI_unitstride_sbrr_dirReg
; %bb.0:
	s_clause 0x2
	s_load_dwordx4 s[8:11], s[4:5], 0x0
	s_load_dwordx2 s[2:3], s[4:5], 0x50
	s_load_dwordx2 s[12:13], s[4:5], 0x18
	v_mul_u32_u24_e32 v1, 0x175, v0
	v_mov_b32_e32 v3, 0
	v_add_nc_u32_sdwa v5, s6, v1 dst_sel:DWORD dst_unused:UNUSED_PAD src0_sel:DWORD src1_sel:WORD_1
	v_mov_b32_e32 v1, 0
	v_mov_b32_e32 v6, v3
	v_mov_b32_e32 v2, 0
	s_waitcnt lgkmcnt(0)
	v_cmp_lt_u64_e64 s0, s[10:11], 2
	s_and_b32 vcc_lo, exec_lo, s0
	s_cbranch_vccnz .LBB0_8
; %bb.1:
	s_load_dwordx2 s[0:1], s[4:5], 0x10
	v_mov_b32_e32 v1, 0
	s_add_u32 s6, s12, 8
	v_mov_b32_e32 v2, 0
	s_addc_u32 s7, s13, 0
	s_mov_b64 s[16:17], 1
	s_waitcnt lgkmcnt(0)
	s_add_u32 s14, s0, 8
	s_addc_u32 s15, s1, 0
.LBB0_2:                                ; =>This Inner Loop Header: Depth=1
	s_load_dwordx2 s[18:19], s[14:15], 0x0
                                        ; implicit-def: $vgpr7_vgpr8
	s_mov_b32 s0, exec_lo
	s_waitcnt lgkmcnt(0)
	v_or_b32_e32 v4, s19, v6
	v_cmpx_ne_u64_e32 0, v[3:4]
	s_xor_b32 s1, exec_lo, s0
	s_cbranch_execz .LBB0_4
; %bb.3:                                ;   in Loop: Header=BB0_2 Depth=1
	v_cvt_f32_u32_e32 v4, s18
	v_cvt_f32_u32_e32 v7, s19
	s_sub_u32 s0, 0, s18
	s_subb_u32 s20, 0, s19
	v_fmac_f32_e32 v4, 0x4f800000, v7
	v_rcp_f32_e32 v4, v4
	v_mul_f32_e32 v4, 0x5f7ffffc, v4
	v_mul_f32_e32 v7, 0x2f800000, v4
	v_trunc_f32_e32 v7, v7
	v_fmac_f32_e32 v4, 0xcf800000, v7
	v_cvt_u32_f32_e32 v7, v7
	v_cvt_u32_f32_e32 v4, v4
	v_mul_lo_u32 v8, s0, v7
	v_mul_hi_u32 v9, s0, v4
	v_mul_lo_u32 v10, s20, v4
	v_add_nc_u32_e32 v8, v9, v8
	v_mul_lo_u32 v9, s0, v4
	v_add_nc_u32_e32 v8, v8, v10
	v_mul_hi_u32 v10, v4, v9
	v_mul_lo_u32 v11, v4, v8
	v_mul_hi_u32 v12, v4, v8
	v_mul_hi_u32 v13, v7, v9
	v_mul_lo_u32 v9, v7, v9
	v_mul_hi_u32 v14, v7, v8
	v_mul_lo_u32 v8, v7, v8
	v_add_co_u32 v10, vcc_lo, v10, v11
	v_add_co_ci_u32_e32 v11, vcc_lo, 0, v12, vcc_lo
	v_add_co_u32 v9, vcc_lo, v10, v9
	v_add_co_ci_u32_e32 v9, vcc_lo, v11, v13, vcc_lo
	v_add_co_ci_u32_e32 v10, vcc_lo, 0, v14, vcc_lo
	v_add_co_u32 v8, vcc_lo, v9, v8
	v_add_co_ci_u32_e32 v9, vcc_lo, 0, v10, vcc_lo
	v_add_co_u32 v4, vcc_lo, v4, v8
	v_add_co_ci_u32_e32 v7, vcc_lo, v7, v9, vcc_lo
	v_mul_hi_u32 v8, s0, v4
	v_mul_lo_u32 v10, s20, v4
	v_mul_lo_u32 v9, s0, v7
	v_add_nc_u32_e32 v8, v8, v9
	v_mul_lo_u32 v9, s0, v4
	v_add_nc_u32_e32 v8, v8, v10
	v_mul_hi_u32 v10, v4, v9
	v_mul_lo_u32 v11, v4, v8
	v_mul_hi_u32 v12, v4, v8
	v_mul_hi_u32 v13, v7, v9
	v_mul_lo_u32 v9, v7, v9
	v_mul_hi_u32 v14, v7, v8
	v_mul_lo_u32 v8, v7, v8
	v_add_co_u32 v10, vcc_lo, v10, v11
	v_add_co_ci_u32_e32 v11, vcc_lo, 0, v12, vcc_lo
	v_add_co_u32 v9, vcc_lo, v10, v9
	v_add_co_ci_u32_e32 v9, vcc_lo, v11, v13, vcc_lo
	v_add_co_ci_u32_e32 v10, vcc_lo, 0, v14, vcc_lo
	v_add_co_u32 v8, vcc_lo, v9, v8
	v_add_co_ci_u32_e32 v9, vcc_lo, 0, v10, vcc_lo
	v_add_co_u32 v4, vcc_lo, v4, v8
	v_add_co_ci_u32_e32 v11, vcc_lo, v7, v9, vcc_lo
	v_mul_hi_u32 v13, v5, v4
	v_mad_u64_u32 v[9:10], null, v6, v4, 0
	v_mad_u64_u32 v[7:8], null, v5, v11, 0
	;; [unrolled: 1-line block ×3, first 2 shown]
	v_add_co_u32 v4, vcc_lo, v13, v7
	v_add_co_ci_u32_e32 v7, vcc_lo, 0, v8, vcc_lo
	v_add_co_u32 v4, vcc_lo, v4, v9
	v_add_co_ci_u32_e32 v4, vcc_lo, v7, v10, vcc_lo
	v_add_co_ci_u32_e32 v7, vcc_lo, 0, v12, vcc_lo
	v_add_co_u32 v4, vcc_lo, v4, v11
	v_add_co_ci_u32_e32 v9, vcc_lo, 0, v7, vcc_lo
	v_mul_lo_u32 v10, s19, v4
	v_mad_u64_u32 v[7:8], null, s18, v4, 0
	v_mul_lo_u32 v11, s18, v9
	v_sub_co_u32 v7, vcc_lo, v5, v7
	v_add3_u32 v8, v8, v11, v10
	v_sub_nc_u32_e32 v10, v6, v8
	v_subrev_co_ci_u32_e64 v10, s0, s19, v10, vcc_lo
	v_add_co_u32 v11, s0, v4, 2
	v_add_co_ci_u32_e64 v12, s0, 0, v9, s0
	v_sub_co_u32 v13, s0, v7, s18
	v_sub_co_ci_u32_e32 v8, vcc_lo, v6, v8, vcc_lo
	v_subrev_co_ci_u32_e64 v10, s0, 0, v10, s0
	v_cmp_le_u32_e32 vcc_lo, s18, v13
	v_cmp_eq_u32_e64 s0, s19, v8
	v_cndmask_b32_e64 v13, 0, -1, vcc_lo
	v_cmp_le_u32_e32 vcc_lo, s19, v10
	v_cndmask_b32_e64 v14, 0, -1, vcc_lo
	v_cmp_le_u32_e32 vcc_lo, s18, v7
	;; [unrolled: 2-line block ×3, first 2 shown]
	v_cndmask_b32_e64 v15, 0, -1, vcc_lo
	v_cmp_eq_u32_e32 vcc_lo, s19, v10
	v_cndmask_b32_e64 v7, v15, v7, s0
	v_cndmask_b32_e32 v10, v14, v13, vcc_lo
	v_add_co_u32 v13, vcc_lo, v4, 1
	v_add_co_ci_u32_e32 v14, vcc_lo, 0, v9, vcc_lo
	v_cmp_ne_u32_e32 vcc_lo, 0, v10
	v_cndmask_b32_e32 v8, v14, v12, vcc_lo
	v_cndmask_b32_e32 v10, v13, v11, vcc_lo
	v_cmp_ne_u32_e32 vcc_lo, 0, v7
	v_cndmask_b32_e32 v8, v9, v8, vcc_lo
	v_cndmask_b32_e32 v7, v4, v10, vcc_lo
.LBB0_4:                                ;   in Loop: Header=BB0_2 Depth=1
	s_andn2_saveexec_b32 s0, s1
	s_cbranch_execz .LBB0_6
; %bb.5:                                ;   in Loop: Header=BB0_2 Depth=1
	v_cvt_f32_u32_e32 v4, s18
	s_sub_i32 s1, 0, s18
	v_rcp_iflag_f32_e32 v4, v4
	v_mul_f32_e32 v4, 0x4f7ffffe, v4
	v_cvt_u32_f32_e32 v4, v4
	v_mul_lo_u32 v7, s1, v4
	v_mul_hi_u32 v7, v4, v7
	v_add_nc_u32_e32 v4, v4, v7
	v_mul_hi_u32 v4, v5, v4
	v_mul_lo_u32 v7, v4, s18
	v_add_nc_u32_e32 v8, 1, v4
	v_sub_nc_u32_e32 v7, v5, v7
	v_subrev_nc_u32_e32 v9, s18, v7
	v_cmp_le_u32_e32 vcc_lo, s18, v7
	v_cndmask_b32_e32 v7, v7, v9, vcc_lo
	v_cndmask_b32_e32 v4, v4, v8, vcc_lo
	v_cmp_le_u32_e32 vcc_lo, s18, v7
	v_add_nc_u32_e32 v8, 1, v4
	v_cndmask_b32_e32 v7, v4, v8, vcc_lo
	v_mov_b32_e32 v8, v3
.LBB0_6:                                ;   in Loop: Header=BB0_2 Depth=1
	s_or_b32 exec_lo, exec_lo, s0
	s_load_dwordx2 s[0:1], s[6:7], 0x0
	v_mul_lo_u32 v4, v8, s18
	v_mul_lo_u32 v11, v7, s19
	v_mad_u64_u32 v[9:10], null, v7, s18, 0
	s_add_u32 s16, s16, 1
	s_addc_u32 s17, s17, 0
	s_add_u32 s6, s6, 8
	s_addc_u32 s7, s7, 0
	;; [unrolled: 2-line block ×3, first 2 shown]
	v_add3_u32 v4, v10, v11, v4
	v_sub_co_u32 v5, vcc_lo, v5, v9
	v_sub_co_ci_u32_e32 v4, vcc_lo, v6, v4, vcc_lo
	s_waitcnt lgkmcnt(0)
	v_mul_lo_u32 v6, s1, v5
	v_mul_lo_u32 v4, s0, v4
	v_mad_u64_u32 v[1:2], null, s0, v5, v[1:2]
	v_cmp_ge_u64_e64 s0, s[16:17], s[10:11]
	s_and_b32 vcc_lo, exec_lo, s0
	v_add3_u32 v2, v6, v2, v4
	s_cbranch_vccnz .LBB0_9
; %bb.7:                                ;   in Loop: Header=BB0_2 Depth=1
	v_mov_b32_e32 v5, v7
	v_mov_b32_e32 v6, v8
	s_branch .LBB0_2
.LBB0_8:
	v_mov_b32_e32 v8, v6
	v_mov_b32_e32 v7, v5
.LBB0_9:
	s_lshl_b64 s[0:1], s[10:11], 3
	v_mul_hi_u32 v5, 0x1745d18, v0
	s_add_u32 s0, s12, s0
	s_addc_u32 s1, s13, s1
	v_mov_b32_e32 v13, 0
	s_load_dwordx2 s[0:1], s[0:1], 0x0
	s_load_dwordx2 s[4:5], s[4:5], 0x20
	v_mov_b32_e32 v16, 0
	v_mov_b32_e32 v14, 0
                                        ; implicit-def: $vgpr10
                                        ; implicit-def: $vgpr15
                                        ; implicit-def: $vgpr21
                                        ; implicit-def: $vgpr19
                                        ; implicit-def: $vgpr12
                                        ; implicit-def: $vgpr11
                                        ; implicit-def: $vgpr22
                                        ; implicit-def: $vgpr20
                                        ; implicit-def: $vgpr27
                                        ; implicit-def: $vgpr17
                                        ; implicit-def: $vgpr18
                                        ; implicit-def: $vgpr24
                                        ; implicit-def: $vgpr23
                                        ; implicit-def: $vgpr25
	s_waitcnt lgkmcnt(0)
	v_mul_lo_u32 v6, s0, v8
	v_mul_lo_u32 v9, s1, v7
	v_mad_u64_u32 v[3:4], null, s0, v7, v[1:2]
	v_mul_u32_u24_e32 v1, 0xb0, v5
	v_cmp_gt_u64_e32 vcc_lo, s[4:5], v[7:8]
                                        ; implicit-def: $vgpr5
                                        ; implicit-def: $vgpr7
                                        ; implicit-def: $vgpr8
	v_sub_nc_u32_e32 v2, v0, v1
	v_add3_u32 v4, v9, v4, v6
                                        ; implicit-def: $vgpr6
                                        ; implicit-def: $vgpr9
	v_lshlrev_b64 v[0:1], 2, v[3:4]
	v_mov_b32_e32 v3, 0
                                        ; implicit-def: $vgpr4
	s_and_saveexec_b32 s1, vcc_lo
	s_cbranch_execz .LBB0_13
; %bb.10:
	v_mov_b32_e32 v3, 0
	v_add_co_u32 v6, s0, s2, v0
	v_add_co_ci_u32_e64 v7, s0, s3, v1, s0
	v_lshlrev_b64 v[4:5], 2, v[2:3]
	v_mov_b32_e32 v14, v3
	v_mov_b32_e32 v16, v3
	v_mov_b32_e32 v13, v3
	s_mov_b32 s4, exec_lo
                                        ; implicit-def: $vgpr25
                                        ; implicit-def: $vgpr23
                                        ; implicit-def: $vgpr24
                                        ; implicit-def: $vgpr18
	v_add_co_u32 v4, s0, v6, v4
	v_add_co_ci_u32_e64 v5, s0, v7, v5, s0
	v_add_co_u32 v6, s0, 0x1000, v4
	v_add_co_ci_u32_e64 v7, s0, 0, v5, s0
	;; [unrolled: 2-line block ×3, first 2 shown]
	s_clause 0x7
	global_load_dword v10, v[4:5], off
	global_load_dword v17, v[6:7], off offset:1360
	global_load_dword v19, v[6:7], off offset:656
	;; [unrolled: 1-line block ×7, first 2 shown]
	v_cmpx_gt_u32_e32 44, v2
	s_cbranch_execz .LBB0_12
; %bb.11:
	v_add_co_u32 v13, s0, 0x1800, v4
	v_add_co_ci_u32_e64 v14, s0, 0, v5, s0
	s_clause 0x3
	global_load_dword v16, v[4:5], off offset:1408
	global_load_dword v3, v[8:9], off offset:944
	;; [unrolled: 1-line block ×4, first 2 shown]
	s_waitcnt vmcnt(3)
	v_lshrrev_b32_e32 v13, 16, v16
	s_waitcnt vmcnt(2)
	v_lshrrev_b32_e32 v14, 16, v3
	;; [unrolled: 2-line block ×4, first 2 shown]
.LBB0_12:
	s_or_b32 exec_lo, exec_lo, s4
	s_waitcnt vmcnt(7)
	v_lshrrev_b32_e32 v5, 16, v10
	s_waitcnt vmcnt(1)
	v_lshrrev_b32_e32 v7, 16, v15
	v_lshrrev_b32_e32 v8, 16, v21
	;; [unrolled: 1-line block ×3, first 2 shown]
	s_waitcnt vmcnt(0)
	v_lshrrev_b32_e32 v6, 16, v12
	v_lshrrev_b32_e32 v9, 16, v11
	;; [unrolled: 1-line block ×4, first 2 shown]
.LBB0_13:
	s_or_b32 exec_lo, exec_lo, s1
	v_sub_f16_e32 v21, v10, v21
	v_sub_f16_e32 v26, v15, v19
	;; [unrolled: 1-line block ×5, first 2 shown]
	v_fma_f16 v4, v10, 2.0, -v21
	v_fma_f16 v10, v15, 2.0, -v26
	v_sub_f16_e32 v15, v16, v24
	v_sub_f16_e32 v29, v3, v25
	;; [unrolled: 1-line block ×3, first 2 shown]
	v_fma_f16 v11, v11, 2.0, -v28
	v_sub_f16_e32 v20, v4, v10
	v_fma_f16 v10, v12, 2.0, -v19
	v_fma_f16 v16, v16, 2.0, -v15
	;; [unrolled: 1-line block ×3, first 2 shown]
	v_sub_f16_e32 v34, v14, v23
	v_sub_f16_e32 v23, v21, v30
	v_fma_f16 v24, v4, 2.0, -v20
	v_sub_f16_e32 v25, v10, v11
	v_sub_f16_e32 v27, v19, v32
	;; [unrolled: 1-line block ×3, first 2 shown]
	v_fma_f16 v11, v21, 2.0, -v23
	v_sub_f16_e32 v12, v15, v34
	v_fma_f16 v31, v10, 2.0, -v25
	v_fma_f16 v19, v19, 2.0, -v27
	;; [unrolled: 1-line block ×3, first 2 shown]
	v_add_nc_u32_e32 v21, 0xb0, v2
	v_pack_b32_f16 v16, v24, v11
	v_add_nc_u32_e32 v11, 0x160, v2
	v_fma_f16 v10, v15, 2.0, -v12
	v_lshl_add_u32 v3, v2, 3, 0
	v_pack_b32_f16 v15, v20, v23
	v_lshl_add_u32 v33, v21, 3, 0
	v_pack_b32_f16 v19, v31, v19
	v_cmp_gt_u32_e64 s0, 44, v2
	v_lshl_add_u32 v31, v11, 3, 0
	v_pack_b32_f16 v20, v25, v27
	ds_write2_b32 v3, v16, v15 offset1:1
	ds_write2_b32 v33, v19, v20 offset1:1
	s_and_saveexec_b32 s1, s0
	s_cbranch_execz .LBB0_15
; %bb.14:
	v_perm_b32 v12, v12, v4, 0x5040100
	v_perm_b32 v15, v10, v17, 0x5040100
	ds_write2_b32 v31, v15, v12 offset1:1
.LBB0_15:
	s_or_b32 exec_lo, exec_lo, s1
	v_mad_i32_i24 v12, v2, -6, v3
	s_waitcnt lgkmcnt(0)
	s_barrier
	buffer_gl0_inv
	v_cmp_gt_u32_e64 s1, 0x58, v2
	ds_read_u16 v23, v12
	ds_read_u16 v24, v12 offset:352
	ds_read_u16 v25, v12 offset:704
	;; [unrolled: 1-line block ×7, first 2 shown]
	s_and_saveexec_b32 s4, s1
	s_cbranch_execz .LBB0_17
; %bb.16:
	ds_read_u16 v17, v12 offset:1408
	ds_read_u16 v10, v12 offset:2992
.LBB0_17:
	s_or_b32 exec_lo, exec_lo, s4
	v_sub_f16_e32 v35, v5, v8
	v_sub_f16_e32 v22, v6, v22
	v_fma_f16 v7, v7, 2.0, -v30
	v_fma_f16 v8, v9, 2.0, -v32
	v_sub_f16_e32 v9, v13, v18
	v_fma_f16 v18, v5, 2.0, -v35
	v_fma_f16 v6, v6, 2.0, -v22
	;; [unrolled: 1-line block ×3, first 2 shown]
	v_add_f16_e32 v26, v35, v26
	v_fma_f16 v13, v13, 2.0, -v9
	v_sub_f16_e32 v7, v18, v7
	v_add_f16_e32 v28, v22, v28
	v_sub_f16_e32 v30, v6, v8
	v_add_f16_e32 v5, v9, v29
	v_sub_f16_e32 v8, v13, v14
	v_fma_f16 v18, v18, 2.0, -v7
	v_fma_f16 v29, v35, 2.0, -v26
	;; [unrolled: 1-line block ×6, first 2 shown]
	v_pack_b32_f16 v9, v18, v29
	v_pack_b32_f16 v7, v7, v26
	;; [unrolled: 1-line block ×4, first 2 shown]
	s_waitcnt lgkmcnt(0)
	s_barrier
	buffer_gl0_inv
	ds_write2_b32 v3, v9, v7 offset1:1
	ds_write2_b32 v33, v6, v13 offset1:1
	s_and_saveexec_b32 s4, s0
	s_cbranch_execz .LBB0_19
; %bb.18:
	v_perm_b32 v3, v5, v8, 0x5040100
	v_perm_b32 v5, v22, v14, 0x5040100
	ds_write2_b32 v31, v5, v3 offset1:1
.LBB0_19:
	s_or_b32 exec_lo, exec_lo, s4
	s_waitcnt lgkmcnt(0)
	s_barrier
	buffer_gl0_inv
	ds_read_u16 v26, v12
	ds_read_u16 v29, v12 offset:352
	ds_read_u16 v30, v12 offset:704
	;; [unrolled: 1-line block ×7, first 2 shown]
	s_and_saveexec_b32 s0, s1
	s_cbranch_execz .LBB0_21
; %bb.20:
	ds_read_u16 v14, v12 offset:1408
	ds_read_u16 v22, v12 offset:2992
.LBB0_21:
	s_or_b32 exec_lo, exec_lo, s0
	v_and_b32_e32 v31, 3, v2
	v_lshlrev_b32_e32 v5, 1, v21
	v_lshlrev_b32_e32 v7, 1, v11
	v_add_nc_u32_e32 v6, 0x2c0, v2
	v_lshlrev_b32_e32 v3, 2, v31
	v_and_or_b32 v13, 0x3f8, v5, v31
	v_and_or_b32 v18, 0x7f8, v7, v31
	v_lshlrev_b32_e32 v6, 1, v6
	global_load_dword v37, v3, s[8:9]
	v_lshlrev_b32_e32 v3, 1, v2
	v_lshl_add_u32 v42, v13, 1, 0
	v_lshl_add_u32 v41, v18, 1, 0
	s_waitcnt vmcnt(0) lgkmcnt(0)
	s_barrier
	v_and_or_b32 v9, 0x1f8, v3, v31
	v_add_nc_u32_e32 v21, 0x420, v3
	buffer_gl0_inv
	v_lshl_add_u32 v43, v9, 1, 0
	v_and_or_b32 v28, 0x7f8, v21, v31
	v_lshl_add_u32 v40, v28, 1, 0
	v_mul_f16_sdwa v9, v36, v37 dst_sel:DWORD dst_unused:UNUSED_PAD src0_sel:DWORD src1_sel:WORD_1
	v_mul_f16_sdwa v38, v22, v37 dst_sel:DWORD dst_unused:UNUSED_PAD src0_sel:DWORD src1_sel:WORD_1
	;; [unrolled: 1-line block ×5, first 2 shown]
	v_fma_f16 v9, v20, v37, -v9
	v_fma_f16 v38, v10, v37, -v38
	;; [unrolled: 1-line block ×5, first 2 shown]
	v_sub_f16_e32 v39, v23, v9
	v_sub_f16_e32 v9, v17, v38
	;; [unrolled: 1-line block ×5, first 2 shown]
	v_fma_f16 v23, v23, 2.0, -v39
	v_fma_f16 v28, v17, 2.0, -v9
	;; [unrolled: 1-line block ×5, first 2 shown]
	ds_write_b16 v43, v39 offset:8
	ds_write_b16 v43, v23
	ds_write_b16 v42, v24
	ds_write_b16 v42, v13 offset:8
	ds_write_b16 v41, v25
	ds_write_b16 v41, v18 offset:8
	;; [unrolled: 2-line block ×3, first 2 shown]
	s_and_saveexec_b32 s0, s1
	s_cbranch_execz .LBB0_23
; %bb.22:
	v_and_or_b32 v13, 0x7f8, v6, v31
	v_lshl_add_u32 v13, v13, 1, 0
	ds_write_b16 v13, v28
	ds_write_b16 v13, v9 offset:8
.LBB0_23:
	s_or_b32 exec_lo, exec_lo, s0
	s_waitcnt lgkmcnt(0)
	s_barrier
	buffer_gl0_inv
	ds_read_u16 v23, v12
	ds_read_u16 v27, v12 offset:352
	ds_read_u16 v38, v12 offset:704
	;; [unrolled: 1-line block ×7, first 2 shown]
	s_and_saveexec_b32 s0, s1
	s_cbranch_execz .LBB0_25
; %bb.24:
	ds_read_u16 v28, v12 offset:1408
	ds_read_u16 v9, v12 offset:2992
.LBB0_25:
	s_or_b32 exec_lo, exec_lo, s0
	v_mul_f16_sdwa v20, v20, v37 dst_sel:DWORD dst_unused:UNUSED_PAD src0_sel:DWORD src1_sel:WORD_1
	v_mul_f16_sdwa v10, v10, v37 dst_sel:DWORD dst_unused:UNUSED_PAD src0_sel:DWORD src1_sel:WORD_1
	;; [unrolled: 1-line block ×5, first 2 shown]
	v_fmac_f16_e32 v20, v36, v37
	v_fmac_f16_e32 v10, v22, v37
	;; [unrolled: 1-line block ×5, first 2 shown]
	v_sub_f16_e32 v20, v26, v20
	v_sub_f16_e32 v25, v14, v10
	;; [unrolled: 1-line block ×5, first 2 shown]
	v_fma_f16 v22, v26, 2.0, -v20
	v_fma_f16 v10, v14, 2.0, -v25
	;; [unrolled: 1-line block ×5, first 2 shown]
	s_waitcnt lgkmcnt(0)
	s_barrier
	buffer_gl0_inv
	ds_write_b16 v43, v22
	ds_write_b16 v43, v20 offset:8
	ds_write_b16 v42, v26
	ds_write_b16 v42, v19 offset:8
	;; [unrolled: 2-line block ×4, first 2 shown]
	s_and_saveexec_b32 s0, s1
	s_cbranch_execz .LBB0_27
; %bb.26:
	v_and_or_b32 v14, 0x7f8, v6, v31
	v_lshl_add_u32 v14, v14, 1, 0
	ds_write_b16 v14, v10
	ds_write_b16 v14, v25 offset:8
.LBB0_27:
	s_or_b32 exec_lo, exec_lo, s0
	s_waitcnt lgkmcnt(0)
	s_barrier
	buffer_gl0_inv
	ds_read_u16 v29, v12
	ds_read_u16 v30, v12 offset:352
	ds_read_u16 v31, v12 offset:704
	;; [unrolled: 1-line block ×7, first 2 shown]
	s_and_saveexec_b32 s0, s1
	s_cbranch_execz .LBB0_29
; %bb.28:
	ds_read_u16 v10, v12 offset:1408
	ds_read_u16 v25, v12 offset:2992
.LBB0_29:
	s_or_b32 exec_lo, exec_lo, s0
	v_and_b32_e32 v32, 7, v2
	v_lshlrev_b32_e32 v14, 2, v32
	v_and_or_b32 v15, 0x3f0, v5, v32
	v_and_or_b32 v16, 0x7f0, v7, v32
	;; [unrolled: 1-line block ×3, first 2 shown]
	global_load_dword v40, v14, s[8:9] offset:16
	v_and_or_b32 v14, 0x1f0, v3, v32
	v_lshl_add_u32 v44, v15, 1, 0
	v_lshl_add_u32 v43, v16, 1, 0
	;; [unrolled: 1-line block ×3, first 2 shown]
	s_waitcnt vmcnt(0) lgkmcnt(0)
	v_lshl_add_u32 v45, v14, 1, 0
	s_barrier
	buffer_gl0_inv
	v_mul_f16_sdwa v14, v37, v40 dst_sel:DWORD dst_unused:UNUSED_PAD src0_sel:DWORD src1_sel:WORD_1
	v_mul_f16_sdwa v15, v34, v40 dst_sel:DWORD dst_unused:UNUSED_PAD src0_sel:DWORD src1_sel:WORD_1
	;; [unrolled: 1-line block ×5, first 2 shown]
	v_fma_f16 v14, v24, v40, -v14
	v_fma_f16 v15, v18, v40, -v15
	;; [unrolled: 1-line block ×5, first 2 shown]
	v_sub_f16_e32 v21, v23, v14
	v_sub_f16_e32 v16, v27, v15
	;; [unrolled: 1-line block ×5, first 2 shown]
	v_fma_f16 v14, v23, 2.0, -v21
	v_fma_f16 v27, v27, 2.0, -v16
	;; [unrolled: 1-line block ×5, first 2 shown]
	ds_write_b16 v45, v21 offset:16
	ds_write_b16 v45, v14
	ds_write_b16 v44, v27
	ds_write_b16 v44, v16 offset:16
	ds_write_b16 v43, v26
	ds_write_b16 v43, v15 offset:16
	;; [unrolled: 2-line block ×3, first 2 shown]
	s_and_saveexec_b32 s0, s1
	s_cbranch_execz .LBB0_31
; %bb.30:
	v_and_or_b32 v28, 0x7f0, v6, v32
	v_lshl_add_u32 v28, v28, 1, 0
	ds_write_b16 v28, v22
	ds_write_b16 v28, v19 offset:16
.LBB0_31:
	s_or_b32 exec_lo, exec_lo, s0
	v_cmp_gt_u32_e64 s0, 0x90, v2
	s_waitcnt lgkmcnt(0)
	s_barrier
	buffer_gl0_inv
	s_and_saveexec_b32 s4, s0
	s_cbranch_execz .LBB0_33
; %bb.32:
	ds_read_u16 v14, v12
	ds_read_u16 v21, v12 offset:288
	ds_read_u16 v27, v12 offset:576
	;; [unrolled: 1-line block ×10, first 2 shown]
.LBB0_33:
	s_or_b32 exec_lo, exec_lo, s4
	v_mul_f16_sdwa v24, v24, v40 dst_sel:DWORD dst_unused:UNUSED_PAD src0_sel:DWORD src1_sel:WORD_1
	v_mul_f16_sdwa v18, v18, v40 dst_sel:DWORD dst_unused:UNUSED_PAD src0_sel:DWORD src1_sel:WORD_1
	;; [unrolled: 1-line block ×5, first 2 shown]
	v_fmac_f16_e32 v24, v37, v40
	v_fmac_f16_e32 v18, v34, v40
	;; [unrolled: 1-line block ×5, first 2 shown]
	v_sub_f16_e32 v35, v29, v24
	v_sub_f16_e32 v40, v30, v18
	v_sub_f16_e32 v39, v31, v17
	v_sub_f16_e32 v37, v33, v13
	v_sub_f16_e32 v28, v10, v9
	v_fma_f16 v9, v29, 2.0, -v35
	v_fma_f16 v30, v30, 2.0, -v40
	;; [unrolled: 1-line block ×5, first 2 shown]
	s_waitcnt lgkmcnt(0)
	s_barrier
	buffer_gl0_inv
	ds_write_b16 v45, v9
	ds_write_b16 v45, v35 offset:16
	ds_write_b16 v44, v30
	ds_write_b16 v44, v40 offset:16
	;; [unrolled: 2-line block ×4, first 2 shown]
	s_and_saveexec_b32 s4, s1
	s_cbranch_execz .LBB0_35
; %bb.34:
	v_and_or_b32 v6, 0x7f0, v6, v32
	v_lshl_add_u32 v6, v6, 1, 0
	ds_write_b16 v6, v29
	ds_write_b16 v6, v28 offset:16
.LBB0_35:
	s_or_b32 exec_lo, exec_lo, s4
	s_waitcnt lgkmcnt(0)
	s_barrier
	buffer_gl0_inv
	s_and_saveexec_b32 s1, s0
	s_cbranch_execz .LBB0_37
; %bb.36:
	ds_read_u16 v9, v12
	ds_read_u16 v35, v12 offset:288
	ds_read_u16 v30, v12 offset:576
	;; [unrolled: 1-line block ×10, first 2 shown]
.LBB0_37:
	s_or_b32 exec_lo, exec_lo, s1
	v_and_b32_e32 v6, 15, v2
	v_mul_u32_u24_e32 v10, 10, v6
	v_lshlrev_b32_e32 v10, 2, v10
	s_clause 0x2
	global_load_dwordx4 v[42:45], v10, s[8:9] offset:48
	global_load_dwordx4 v[46:49], v10, s[8:9] offset:64
	global_load_dwordx2 v[50:51], v10, s[8:9] offset:80
	s_waitcnt vmcnt(0) lgkmcnt(0)
	s_barrier
	buffer_gl0_inv
	v_mul_f16_sdwa v38, v35, v42 dst_sel:DWORD dst_unused:UNUSED_PAD src0_sel:DWORD src1_sel:WORD_1
	v_mul_f16_sdwa v36, v21, v42 dst_sel:DWORD dst_unused:UNUSED_PAD src0_sel:DWORD src1_sel:WORD_1
	;; [unrolled: 1-line block ×20, first 2 shown]
	v_fma_f16 v38, v21, v42, -v38
	v_fmac_f16_e32 v36, v35, v42
	v_fma_f16 v35, v27, v43, -v52
	v_fmac_f16_e32 v34, v30, v43
	;; [unrolled: 2-line block ×10, first 2 shown]
	v_lshrrev_b32_e32 v4, 4, v2
	s_and_saveexec_b32 s1, s0
	s_cbranch_execz .LBB0_39
; %bb.38:
	v_sub_f16_e32 v20, v36, v33
	v_add_f16_e32 v19, v38, v39
	v_sub_f16_e32 v26, v34, v32
	v_add_f16_e32 v22, v35, v37
	v_sub_f16_e32 v28, v24, v25
	v_mul_f16_e32 v43, 0xb482, v20
	v_add_f16_e32 v27, v30, v31
	v_mul_f16_e32 v44, 0x3853, v26
	v_sub_f16_e32 v40, v17, v18
	v_mul_f16_e32 v45, 0xba0c, v28
	v_fmamk_f16 v48, v19, 0xbbad, v43
	v_add_f16_e32 v29, v21, v23
	v_fmamk_f16 v51, v22, 0x3abb, v44
	v_sub_f16_e32 v42, v10, v13
	v_mul_f16_e32 v46, 0x3b47, v40
	v_add_f16_e32 v48, v14, v48
	v_fmamk_f16 v52, v27, 0xb93d, v45
	v_fma_f16 v43, v19, 0xbbad, -v43
	v_add_f16_e32 v41, v15, v16
	v_mul_f16_e32 v47, 0xbbeb, v42
	v_add_f16_e32 v48, v51, v48
	v_mul_f16_e32 v49, 0xba0c, v20
	v_fmamk_f16 v53, v29, 0x36a6, v46
	v_fma_f16 v44, v22, 0x3abb, -v44
	v_add_f16_e32 v43, v14, v43
	v_add_f16_e32 v48, v52, v48
	v_mul_f16_e32 v50, 0x3beb, v26
	v_fmamk_f16 v51, v41, 0xb08e, v47
	v_fma_f16 v45, v27, 0xb93d, -v45
	v_fmamk_f16 v52, v19, 0xb93d, v49
	v_add_f16_e32 v43, v44, v43
	v_add_f16_e32 v44, v53, v48
	v_fma_f16 v46, v29, 0x36a6, -v46
	v_mul_f16_e32 v53, 0x3482, v26
	v_add_f16_e32 v48, v14, v52
	v_add_f16_e32 v43, v45, v43
	;; [unrolled: 1-line block ×3, first 2 shown]
	v_fmamk_f16 v45, v22, 0xb08e, v50
	v_mul_f16_e32 v51, 0xb853, v28
	v_mul_f16_e32 v52, 0xbbeb, v20
	v_add_f16_e32 v43, v46, v43
	v_fma_f16 v46, v41, 0xb08e, -v47
	v_fma_f16 v47, v19, 0xb93d, -v49
	v_add_f16_e32 v45, v45, v48
	v_fmamk_f16 v48, v27, 0x3abb, v51
	v_mul_f16_e32 v49, 0xb482, v40
	v_add_f16_e32 v43, v46, v43
	v_add_f16_e32 v46, v14, v47
	v_fma_f16 v47, v22, 0xb08e, -v50
	v_add_f16_e32 v45, v48, v45
	v_fmamk_f16 v48, v29, 0xbbad, v49
	v_mul_f16_e32 v50, 0x3b47, v42
	v_mul_f16_e32 v54, 0xbb47, v20
	v_add_f16_e32 v46, v47, v46
	v_fma_f16 v47, v27, 0x3abb, -v51
	v_add_f16_e32 v45, v48, v45
	v_fmamk_f16 v48, v41, 0x36a6, v50
	v_fmamk_f16 v51, v19, 0xb08e, v52
	v_add_f16_e32 v8, v14, v38
	v_add_f16_e32 v46, v47, v46
	v_fma_f16 v47, v29, 0xbbad, -v49
	v_add_f16_e32 v45, v48, v45
	v_add_f16_e32 v48, v14, v51
	v_fmamk_f16 v49, v22, 0xbbad, v53
	v_mul_f16_e32 v51, 0x3b47, v28
	v_add_f16_e32 v46, v47, v46
	v_fma_f16 v47, v41, 0x36a6, -v50
	v_fma_f16 v50, v19, 0xb08e, -v52
	v_add_f16_e32 v48, v49, v48
	v_fmamk_f16 v49, v27, 0x36a6, v51
	v_mul_f16_e32 v52, 0xb853, v40
	v_add_f16_e32 v46, v47, v46
	v_add_f16_e32 v47, v14, v50
	v_fma_f16 v50, v22, 0xbbad, -v53
	v_add_f16_e32 v48, v49, v48
	v_fmamk_f16 v49, v29, 0x3abb, v52
	v_mul_f16_e32 v53, 0xba0c, v42
	v_mul_f16_e32 v55, 0xba0c, v26
	v_add_f16_e32 v47, v50, v47
	v_fma_f16 v50, v27, 0x36a6, -v51
	v_add_f16_e32 v48, v49, v48
	v_fmamk_f16 v49, v41, 0xb93d, v53
	v_fmamk_f16 v51, v19, 0x36a6, v54
	v_add_f16_e32 v8, v8, v35
	v_add_f16_e32 v47, v50, v47
	v_fma_f16 v50, v29, 0x3abb, -v52
	v_add_f16_e32 v48, v49, v48
	v_add_f16_e32 v49, v14, v51
	v_fmamk_f16 v51, v22, 0xb93d, v55
	v_mul_f16_e32 v52, 0x3482, v28
	v_add_f16_e32 v8, v8, v30
	v_add_f16_e32 v47, v50, v47
	v_fma_f16 v50, v41, 0xb93d, -v53
	v_fma_f16 v53, v19, 0x36a6, -v54
	v_add_f16_e32 v49, v51, v49
	v_fmamk_f16 v51, v27, 0xbbad, v52
	v_mul_f16_e32 v54, 0x3beb, v40
	v_add_f16_e32 v8, v8, v21
	v_mul_f16_e32 v20, 0xb853, v20
	v_mul_f16_e32 v26, 0xbb47, v26
	v_add_f16_e32 v49, v51, v49
	v_fmamk_f16 v51, v29, 0xb08e, v54
	v_add_f16_e32 v8, v8, v15
	v_mul_f16_e32 v28, 0xbbeb, v28
	v_add_f16_e32 v47, v50, v47
	v_add_f16_e32 v50, v14, v53
	;; [unrolled: 1-line block ×3, first 2 shown]
	v_fma_f16 v51, v19, 0x3abb, -v20
	v_add_f16_e32 v8, v8, v16
	v_fmamk_f16 v19, v19, 0x3abb, v20
	v_fma_f16 v53, v22, 0xb93d, -v55
	v_fma_f16 v52, v27, 0xbbad, -v52
	v_add_f16_e32 v20, v14, v51
	v_fma_f16 v51, v22, 0x36a6, -v26
	v_add_f16_e32 v8, v8, v23
	v_add_f16_e32 v14, v14, v19
	v_fmamk_f16 v19, v22, 0x36a6, v26
	v_fma_f16 v22, v27, 0xb08e, -v28
	v_add_f16_e32 v20, v51, v20
	v_mul_f16_e32 v26, 0xba0c, v40
	v_add_f16_e32 v50, v53, v50
	v_add_f16_e32 v8, v8, v31
	;; [unrolled: 1-line block ×3, first 2 shown]
	v_fmamk_f16 v19, v27, 0xb08e, v28
	v_add_f16_e32 v20, v22, v20
	v_fma_f16 v22, v29, 0xb93d, -v26
	v_mul_u32_u24_e32 v27, 0xb0, v4
	v_mul_f16_e32 v28, 0xb482, v42
	v_mul_f16_e32 v55, 0x3853, v42
	v_add_f16_e32 v50, v52, v50
	v_fma_f16 v52, v29, 0xb08e, -v54
	v_add_f16_e32 v8, v8, v37
	v_add_f16_e32 v14, v19, v14
	v_fmamk_f16 v19, v29, 0xb93d, v26
	v_add_f16_e32 v20, v22, v20
	v_or_b32_e32 v22, v27, v6
	v_fma_f16 v26, v41, 0xbbad, -v28
	v_add_f16_e32 v40, v52, v50
	v_fma_f16 v27, v41, 0x3abb, -v55
	v_add_f16_e32 v8, v8, v39
	v_fmamk_f16 v53, v41, 0x3abb, v55
	v_add_f16_e32 v14, v19, v14
	v_fmamk_f16 v19, v41, 0xbbad, v28
	v_lshl_add_u32 v22, v22, 1, 0
	v_add_f16_e32 v20, v26, v20
	v_add_f16_e32 v26, v27, v40
	;; [unrolled: 1-line block ×4, first 2 shown]
	ds_write_b16 v22, v8
	ds_write_b16 v22, v20 offset:32
	ds_write_b16 v22, v26 offset:64
	;; [unrolled: 1-line block ×10, first 2 shown]
.LBB0_39:
	s_or_b32 exec_lo, exec_lo, s1
	s_waitcnt lgkmcnt(0)
	s_barrier
	buffer_gl0_inv
	ds_read_u16 v19, v12
	ds_read_u16 v14, v12 offset:352
	ds_read_u16 v27, v12 offset:1408
	;; [unrolled: 1-line block ×8, first 2 shown]
	s_waitcnt lgkmcnt(0)
	s_barrier
	buffer_gl0_inv
	s_and_saveexec_b32 s1, s0
	s_cbranch_execz .LBB0_41
; %bb.40:
	v_add_f16_e32 v40, v9, v36
	v_sub_f16_e32 v38, v38, v39
	v_add_f16_e32 v39, v34, v32
	v_add_f16_e32 v36, v36, v33
	v_sub_f16_e32 v35, v35, v37
	v_add_f16_e32 v34, v40, v34
	v_mul_f16_e32 v40, 0xbb47, v38
	v_mul_f16_e32 v41, 0xbbeb, v38
	;; [unrolled: 1-line block ×4, first 2 shown]
	v_add_f16_e32 v34, v34, v24
	v_fmamk_f16 v47, v36, 0x36a6, v40
	v_fma_f16 v40, v36, 0x36a6, -v40
	v_mul_f16_e32 v42, 0xba0c, v38
	v_mul_f16_e32 v38, 0xb482, v38
	v_add_f16_e32 v34, v34, v17
	v_mul_f16_e32 v45, 0x3482, v35
	v_fmamk_f16 v48, v36, 0xb08e, v41
	v_fma_f16 v41, v36, 0xb08e, -v41
	v_add_f16_e32 v40, v9, v40
	v_add_f16_e32 v34, v34, v10
	v_mul_f16_e32 v43, 0xbb47, v35
	v_fmamk_f16 v46, v36, 0x3abb, v37
	v_fmamk_f16 v49, v36, 0xb93d, v42
	v_fma_f16 v42, v36, 0xb93d, -v42
	v_add_f16_e32 v34, v34, v13
	v_fmamk_f16 v50, v36, 0xbbad, v38
	v_fmamk_f16 v51, v39, 0xb93d, v44
	v_add_f16_e32 v41, v9, v41
	v_sub_f16_e32 v30, v30, v31
	v_add_f16_e32 v34, v34, v18
	v_fma_f16 v37, v36, 0x3abb, -v37
	v_fma_f16 v36, v36, 0xbbad, -v38
	v_fmamk_f16 v38, v39, 0x36a6, v43
	v_add_f16_e32 v46, v9, v46
	v_add_f16_e32 v34, v34, v25
	;; [unrolled: 1-line block ×3, first 2 shown]
	v_mul_f16_e32 v25, 0xbbeb, v30
	v_fma_f16 v43, v39, 0x36a6, -v43
	v_add_f16_e32 v37, v9, v37
	v_add_f16_e32 v32, v34, v32
	;; [unrolled: 1-line block ×7, first 2 shown]
	v_fma_f16 v33, v39, 0xb93d, -v44
	v_fma_f16 v44, v39, 0xbbad, -v45
	v_add_f16_e32 v49, v9, v49
	v_add_f16_e32 v9, v9, v36
	;; [unrolled: 1-line block ×4, first 2 shown]
	v_mul_f16_e32 v40, 0x3beb, v35
	v_mul_f16_e32 v35, 0x3853, v35
	v_add_f16_e32 v41, v44, v41
	v_fmamk_f16 v38, v39, 0xbbad, v45
	v_add_f16_e32 v37, v43, v37
	v_fmamk_f16 v31, v39, 0xb08e, v40
	v_fma_f16 v40, v39, 0xb08e, -v40
	v_fmamk_f16 v44, v39, 0x3abb, v35
	v_fma_f16 v35, v39, 0x3abb, -v35
	v_add_f16_e32 v38, v38, v48
	v_sub_f16_e32 v21, v21, v23
	v_add_f16_e32 v34, v40, v34
	v_add_f16_e32 v39, v44, v42
	v_fmamk_f16 v40, v24, 0xb08e, v25
	v_mul_f16_e32 v42, 0x3482, v30
	v_add_f16_e32 v9, v35, v9
	v_fma_f16 v25, v24, 0xb08e, -v25
	v_mul_f16_e32 v35, 0x3b47, v30
	v_add_f16_e32 v36, v40, v36
	v_fmamk_f16 v40, v24, 0xbbad, v42
	v_fma_f16 v42, v24, 0xbbad, -v42
	v_add_f16_e32 v25, v25, v37
	v_fmamk_f16 v37, v24, 0x36a6, v35
	v_add_f16_e32 v31, v31, v49
	v_fma_f16 v35, v24, 0x36a6, -v35
	v_add_f16_e32 v33, v42, v33
	v_mul_f16_e32 v42, 0xb853, v30
	v_add_f16_e32 v37, v37, v38
	v_mul_f16_e32 v23, 0xba0c, v30
	;; [unrolled: 2-line block ×3, first 2 shown]
	v_fmamk_f16 v30, v24, 0x3abb, v42
	v_fma_f16 v38, v24, 0x3abb, -v42
	v_add_f16_e32 v43, v51, v47
	v_add_f16_e32 v35, v35, v41
	v_fmamk_f16 v41, v24, 0xb93d, v23
	v_add_f16_e32 v30, v30, v31
	v_add_f16_e32 v31, v38, v34
	v_fma_f16 v23, v24, 0xb93d, -v23
	v_fmamk_f16 v24, v17, 0xb93d, v18
	v_mul_f16_e32 v38, 0x3beb, v21
	v_fma_f16 v18, v17, 0xb93d, -v18
	v_add_f16_e32 v40, v40, v43
	v_add_f16_e32 v9, v23, v9
	;; [unrolled: 1-line block ×3, first 2 shown]
	v_mul_f16_e32 v24, 0xb853, v21
	v_fmamk_f16 v36, v17, 0xb08e, v38
	v_add_f16_e32 v18, v18, v25
	v_mul_f16_e32 v25, 0xb482, v21
	v_mul_f16_e32 v21, 0x3b47, v21
	v_sub_f16_e32 v15, v15, v16
	v_add_f16_e32 v34, v41, v39
	v_fma_f16 v38, v17, 0xb08e, -v38
	v_fmamk_f16 v39, v17, 0x3abb, v24
	v_add_f16_e32 v36, v36, v40
	v_fma_f16 v24, v17, 0x3abb, -v24
	v_fmamk_f16 v40, v17, 0xbbad, v25
	v_fma_f16 v16, v17, 0xbbad, -v25
	v_fmamk_f16 v25, v17, 0x36a6, v21
	v_fma_f16 v17, v17, 0x36a6, -v21
	v_add_f16_e32 v10, v10, v13
	v_mul_f16_e32 v21, 0x3853, v15
	v_mul_f16_e32 v13, 0xb482, v15
	v_add_f16_e32 v33, v38, v33
	v_add_f16_e32 v16, v16, v31
	;; [unrolled: 1-line block ×3, first 2 shown]
	v_fmamk_f16 v31, v10, 0x3abb, v21
	v_fma_f16 v21, v10, 0x3abb, -v21
	v_add_f16_e32 v9, v17, v9
	v_fmamk_f16 v17, v10, 0xbbad, v13
	v_fma_f16 v13, v10, 0xbbad, -v13
	v_mul_f16_e32 v34, 0xba0c, v15
	v_mul_u32_u24_e32 v4, 0xb0, v4
	v_add_f16_e32 v21, v21, v33
	v_mul_f16_e32 v33, 0x3b47, v15
	v_add_f16_e32 v24, v24, v35
	v_add_f16_e32 v13, v13, v18
	;; [unrolled: 1-line block ×3, first 2 shown]
	v_fma_f16 v31, v10, 0xb93d, -v34
	v_mul_f16_e32 v15, 0xbbeb, v15
	v_or_b32_e32 v4, v4, v6
	v_add_f16_e32 v37, v39, v37
	v_add_f16_e32 v17, v17, v23
	v_fmamk_f16 v23, v10, 0xb93d, v34
	v_add_f16_e32 v30, v40, v30
	v_fmamk_f16 v6, v10, 0x36a6, v33
	v_add_f16_e32 v24, v31, v24
	v_fma_f16 v31, v10, 0x36a6, -v33
	v_fmamk_f16 v33, v10, 0xb08e, v15
	v_fma_f16 v10, v10, 0xb08e, -v15
	v_lshl_add_u32 v4, v4, 1, 0
	v_add_f16_e32 v23, v23, v37
	v_add_f16_e32 v6, v6, v30
	v_add_f16_e32 v15, v31, v16
	v_add_f16_e32 v16, v33, v25
	v_add_f16_e32 v9, v10, v9
	ds_write_b16 v4, v32
	ds_write_b16 v4, v17 offset:32
	ds_write_b16 v4, v18 offset:64
	ds_write_b16 v4, v23 offset:96
	ds_write_b16 v4, v6 offset:128
	ds_write_b16 v4, v16 offset:160
	ds_write_b16 v4, v9 offset:192
	ds_write_b16 v4, v15 offset:224
	ds_write_b16 v4, v24 offset:256
	ds_write_b16 v4, v21 offset:288
	ds_write_b16 v4, v13 offset:320
.LBB0_41:
	s_or_b32 exec_lo, exec_lo, s1
	v_mov_b32_e32 v4, 0
	s_waitcnt lgkmcnt(0)
	s_barrier
	buffer_gl0_inv
	v_lshlrev_b64 v[9:10], 2, v[3:4]
	v_mov_b32_e32 v3, 0xba2f
	v_mul_u32_u24_sdwa v3, v11, v3 dst_sel:DWORD dst_unused:UNUSED_PAD src0_sel:WORD_0 src1_sel:DWORD
	v_add_co_u32 v9, s0, s8, v9
	v_add_co_ci_u32_e64 v10, s0, s9, v10, s0
	v_lshrrev_b32_e32 v3, 23, v3
	global_load_dwordx2 v[15:16], v[9:10], off offset:688
	v_mul_lo_u16 v3, 0xb0, v3
	v_sub_nc_u16 v3, v11, v3
	v_and_b32_e32 v3, 0xffff, v3
	v_lshlrev_b32_e32 v6, 3, v3
	v_lshl_add_u32 v3, v3, 1, 0
	global_load_dwordx2 v[17:18], v6, s[8:9] offset:688
	ds_read_u16 v6, v12 offset:1056
	ds_read_u16 v13, v12 offset:2112
	;; [unrolled: 1-line block ×4, first 2 shown]
	ds_read_u16 v24, v12
	ds_read_u16 v25, v12 offset:352
	ds_read_u16 v30, v12 offset:1760
	;; [unrolled: 1-line block ×4, first 2 shown]
	s_waitcnt vmcnt(0) lgkmcnt(0)
	s_barrier
	buffer_gl0_inv
	v_mul_f16_sdwa v33, v6, v15 dst_sel:DWORD dst_unused:UNUSED_PAD src0_sel:DWORD src1_sel:WORD_1
	v_mul_f16_sdwa v34, v29, v15 dst_sel:DWORD dst_unused:UNUSED_PAD src0_sel:DWORD src1_sel:WORD_1
	v_mul_f16_sdwa v35, v13, v16 dst_sel:DWORD dst_unused:UNUSED_PAD src0_sel:DWORD src1_sel:WORD_1
	v_mul_f16_sdwa v36, v28, v16 dst_sel:DWORD dst_unused:UNUSED_PAD src0_sel:DWORD src1_sel:WORD_1
	v_mul_f16_sdwa v37, v21, v15 dst_sel:DWORD dst_unused:UNUSED_PAD src0_sel:DWORD src1_sel:WORD_1
	v_mul_f16_sdwa v38, v27, v15 dst_sel:DWORD dst_unused:UNUSED_PAD src0_sel:DWORD src1_sel:WORD_1
	v_mul_f16_sdwa v39, v23, v16 dst_sel:DWORD dst_unused:UNUSED_PAD src0_sel:DWORD src1_sel:WORD_1
	v_mul_f16_sdwa v40, v26, v16 dst_sel:DWORD dst_unused:UNUSED_PAD src0_sel:DWORD src1_sel:WORD_1
	v_fma_f16 v29, v29, v15, -v33
	v_fmac_f16_e32 v34, v6, v15
	v_fma_f16 v6, v28, v16, -v35
	v_fmac_f16_e32 v36, v13, v16
	;; [unrolled: 2-line block ×4, first 2 shown]
	v_add_f16_e32 v16, v19, v29
	v_add_f16_e32 v21, v29, v6
	v_sub_f16_e32 v28, v29, v6
	v_add_f16_e32 v29, v14, v13
	v_sub_f16_e32 v23, v34, v36
	v_add_f16_e32 v26, v24, v34
	v_add_f16_e32 v27, v34, v36
	;; [unrolled: 1-line block ×3, first 2 shown]
	v_sub_f16_e32 v34, v38, v40
	v_add_f16_e32 v35, v25, v38
	v_add_f16_e32 v37, v38, v40
	v_sub_f16_e32 v38, v13, v15
	v_add_f16_e32 v6, v16, v6
	v_fmac_f16_e32 v19, -0.5, v21
	v_add_f16_e32 v13, v29, v15
	v_mul_f16_sdwa v15, v30, v17 dst_sel:DWORD dst_unused:UNUSED_PAD src0_sel:DWORD src1_sel:WORD_1
	v_mul_f16_sdwa v21, v32, v18 dst_sel:DWORD dst_unused:UNUSED_PAD src0_sel:DWORD src1_sel:WORD_1
	;; [unrolled: 1-line block ×4, first 2 shown]
	ds_write_b16 v12, v6
	v_fma_f16 v6, v20, v17, -v15
	v_fma_f16 v15, v22, v18, -v21
	v_fmac_f16_e32 v24, -0.5, v27
	v_fmac_f16_e32 v14, -0.5, v33
	ds_write_b16 v12, v13 offset:1056
	v_fmac_f16_e32 v16, v30, v17
	v_fmac_f16_e32 v29, v32, v18
	v_add_f16_e32 v13, v6, v15
	v_fmamk_f16 v33, v23, 0x3aee, v19
	v_fmac_f16_e32 v19, 0xbaee, v23
	v_fmamk_f16 v23, v28, 0xbaee, v24
	v_fmac_f16_e32 v24, 0x3aee, v28
	;; [unrolled: 2-line block ×3, first 2 shown]
	v_add_f16_e32 v17, v8, v6
	v_sub_f16_e32 v18, v16, v29
	v_fmac_f16_e32 v8, -0.5, v13
	ds_write_b16 v12, v33 offset:352
	ds_write_b16 v12, v19 offset:704
	;; [unrolled: 1-line block ×4, first 2 shown]
	v_add_f16_e32 v13, v16, v29
	v_add_f16_e32 v14, v17, v15
	;; [unrolled: 1-line block ×3, first 2 shown]
	v_fmamk_f16 v16, v18, 0x3aee, v8
	v_fmac_f16_e32 v8, 0xbaee, v18
	v_sub_f16_e32 v6, v6, v15
	v_fmac_f16_e32 v31, -0.5, v13
	ds_write_b16 v3, v14 offset:2112
	ds_write_b16 v3, v16 offset:2464
	;; [unrolled: 1-line block ×3, first 2 shown]
	s_waitcnt lgkmcnt(0)
	s_barrier
	buffer_gl0_inv
	ds_read_u16 v13, v12
	ds_read_u16 v14, v12 offset:352
	ds_read_u16 v17, v12 offset:1408
	;; [unrolled: 1-line block ×8, first 2 shown]
	v_fmac_f16_e32 v25, -0.5, v37
	v_add_f16_e32 v26, v26, v36
	v_add_f16_e32 v27, v35, v40
	;; [unrolled: 1-line block ×3, first 2 shown]
	v_fmamk_f16 v22, v6, 0xbaee, v31
	v_fmamk_f16 v34, v38, 0xbaee, v25
	v_fmac_f16_e32 v25, 0x3aee, v38
	v_fmac_f16_e32 v31, 0x3aee, v6
	s_waitcnt lgkmcnt(0)
	s_barrier
	buffer_gl0_inv
	ds_write_b16 v12, v26
	ds_write_b16 v12, v23 offset:352
	ds_write_b16 v12, v24 offset:704
	;; [unrolled: 1-line block ×8, first 2 shown]
	s_waitcnt lgkmcnt(0)
	s_barrier
	buffer_gl0_inv
	s_and_saveexec_b32 s0, vcc_lo
	s_cbranch_execz .LBB0_43
; %bb.42:
	v_mov_b32_e32 v8, v4
	v_mov_b32_e32 v6, v4
	v_lshlrev_b64 v[7:8], 2, v[7:8]
	v_lshlrev_b64 v[5:6], 2, v[5:6]
	v_add_co_u32 v3, vcc_lo, s8, v7
	v_add_co_ci_u32_e32 v7, vcc_lo, s9, v8, vcc_lo
	v_add_co_u32 v8, vcc_lo, s8, v5
	v_add_co_ci_u32_e32 v22, vcc_lo, s9, v6, vcc_lo
	;; [unrolled: 2-line block ×5, first 2 shown]
	s_clause 0x2
	global_load_dwordx2 v[5:6], v[5:6], off offset:48
	global_load_dwordx2 v[7:8], v[7:8], off offset:48
	;; [unrolled: 1-line block ×3, first 2 shown]
	ds_read_u16 v28, v12 offset:2816
	ds_read_u16 v29, v12 offset:2464
	;; [unrolled: 1-line block ×3, first 2 shown]
	v_mul_hi_u32 v22, 0x3e0f83e1, v11
	ds_read_u16 v31, v12 offset:1760
	ds_read_u16 v32, v12 offset:1408
	ds_read_u16 v33, v12 offset:1056
	ds_read_u16 v34, v12 offset:704
	ds_read_u16 v35, v12 offset:352
	ds_read_u16 v36, v12
	v_mov_b32_e32 v3, v4
	v_add_co_u32 v0, vcc_lo, s2, v0
	v_add_co_ci_u32_e32 v1, vcc_lo, s3, v1, vcc_lo
	v_lshlrev_b64 v[11:12], 2, v[2:3]
	v_lshrrev_b32_e32 v2, 7, v22
	v_mul_u32_u24_e32 v3, 0x420, v2
	v_add_co_u32 v0, vcc_lo, v0, v11
	v_add_co_ci_u32_e32 v1, vcc_lo, v1, v12, vcc_lo
	v_lshlrev_b64 v[2:3], 2, v[3:4]
	v_add_co_u32 v11, vcc_lo, 0x800, v0
	v_add_co_ci_u32_e32 v12, vcc_lo, 0, v1, vcc_lo
	v_add_co_u32 v2, vcc_lo, v0, v2
	v_add_co_ci_u32_e32 v3, vcc_lo, v1, v3, vcc_lo
	v_add_co_u32 v22, vcc_lo, 0x1000, v0
	v_add_co_ci_u32_e32 v23, vcc_lo, 0, v1, vcc_lo
	v_add_co_u32 v24, vcc_lo, 0x800, v2
	v_add_co_ci_u32_e32 v25, vcc_lo, 0, v3, vcc_lo
	v_add_co_u32 v26, vcc_lo, 0x1000, v2
	v_add_co_ci_u32_e32 v27, vcc_lo, 0, v3, vcc_lo
	s_waitcnt vmcnt(2) lgkmcnt(5)
	v_mul_f16_sdwa v4, v31, v5 dst_sel:DWORD dst_unused:UNUSED_PAD src0_sel:DWORD src1_sel:WORD_1
	v_mul_f16_sdwa v37, v28, v6 dst_sel:DWORD dst_unused:UNUSED_PAD src0_sel:DWORD src1_sel:WORD_1
	v_mul_f16_sdwa v38, v20, v5 dst_sel:DWORD dst_unused:UNUSED_PAD src0_sel:DWORD src1_sel:WORD_1
	v_mul_f16_sdwa v39, v21, v6 dst_sel:DWORD dst_unused:UNUSED_PAD src0_sel:DWORD src1_sel:WORD_1
	s_waitcnt vmcnt(1) lgkmcnt(4)
	v_mul_f16_sdwa v40, v32, v7 dst_sel:DWORD dst_unused:UNUSED_PAD src0_sel:DWORD src1_sel:WORD_1
	v_mul_f16_sdwa v41, v29, v8 dst_sel:DWORD dst_unused:UNUSED_PAD src0_sel:DWORD src1_sel:WORD_1
	v_mul_f16_sdwa v42, v17, v7 dst_sel:DWORD dst_unused:UNUSED_PAD src0_sel:DWORD src1_sel:WORD_1
	v_mul_f16_sdwa v43, v18, v8 dst_sel:DWORD dst_unused:UNUSED_PAD src0_sel:DWORD src1_sel:WORD_1
	;; [unrolled: 5-line block ×3, first 2 shown]
	v_fma_f16 v4, v20, v5, -v4
	v_fma_f16 v20, v21, v6, -v37
	v_fmac_f16_e32 v38, v5, v31
	v_fmac_f16_e32 v39, v6, v28
	v_fma_f16 v5, v17, v7, -v40
	v_fma_f16 v6, v18, v8, -v41
	v_fmac_f16_e32 v42, v7, v32
	v_fmac_f16_e32 v43, v8, v29
	;; [unrolled: 4-line block ×3, first 2 shown]
	v_add_f16_e32 v10, v38, v39
	v_add_f16_e32 v16, v4, v20
	s_waitcnt lgkmcnt(2)
	v_add_f16_e32 v18, v38, v34
	v_sub_f16_e32 v19, v5, v6
	v_add_f16_e32 v21, v42, v43
	v_add_f16_e32 v28, v5, v6
	v_add_f16_e32 v5, v14, v5
	v_add_f16_e32 v32, v46, v47
	v_add_f16_e32 v33, v7, v8
	v_sub_f16_e32 v17, v38, v39
	v_sub_f16_e32 v31, v7, v8
	s_waitcnt lgkmcnt(0)
	v_add_f16_e32 v38, v46, v36
	v_add_f16_e32 v7, v13, v7
	v_sub_f16_e32 v9, v4, v20
	v_add_f16_e32 v4, v15, v4
	v_add_f16_e32 v30, v42, v35
	v_sub_f16_e32 v37, v46, v47
	v_fma_f16 v10, -0.5, v10, v34
	v_fma_f16 v15, -0.5, v16, v15
	v_add_f16_e32 v16, v39, v18
	v_fma_f16 v18, -0.5, v21, v35
	v_add_f16_e32 v5, v5, v6
	v_fma_f16 v6, -0.5, v32, v36
	v_fma_f16 v13, -0.5, v33, v13
	v_add_f16_e32 v21, v47, v38
	v_add_f16_e32 v7, v7, v8
	v_sub_f16_e32 v29, v42, v43
	v_add_f16_e32 v4, v4, v20
	v_fma_f16 v14, -0.5, v28, v14
	v_add_f16_e32 v20, v43, v30
	v_fmamk_f16 v8, v9, 0x3aee, v10
	v_fmac_f16_e32 v10, 0xbaee, v9
	v_fmamk_f16 v9, v19, 0x3aee, v18
	v_fmac_f16_e32 v18, 0xbaee, v19
	v_fmamk_f16 v19, v31, 0x3aee, v6
	v_fmamk_f16 v30, v37, 0xbaee, v13
	v_fmac_f16_e32 v6, 0xbaee, v31
	v_fmac_f16_e32 v13, 0x3aee, v37
	v_pack_b32_f16 v7, v7, v21
	v_fmamk_f16 v28, v17, 0xbaee, v15
	v_fmac_f16_e32 v15, 0x3aee, v17
	v_fmamk_f16 v17, v29, 0xbaee, v14
	v_fmac_f16_e32 v14, 0x3aee, v29
	v_pack_b32_f16 v5, v5, v20
	v_pack_b32_f16 v6, v13, v6
	global_store_dword v[0:1], v7, off
	v_pack_b32_f16 v7, v30, v19
	v_pack_b32_f16 v4, v4, v16
	global_store_dword v[0:1], v5, off offset:704
	v_pack_b32_f16 v0, v14, v18
	v_pack_b32_f16 v1, v17, v9
	v_pack_b32_f16 v5, v15, v10
	v_pack_b32_f16 v8, v28, v8
	global_store_dword v[11:12], v6, off offset:64
	global_store_dword v[22:23], v7, off offset:128
	;; [unrolled: 1-line block ×7, first 2 shown]
.LBB0_43:
	s_endpgm
	.section	.rodata,"a",@progbits
	.p2align	6, 0x0
	.amdhsa_kernel fft_rtc_fwd_len1584_factors_4_2_2_11_3_3_wgs_176_tpt_176_halfLds_half_ip_CI_unitstride_sbrr_dirReg
		.amdhsa_group_segment_fixed_size 0
		.amdhsa_private_segment_fixed_size 0
		.amdhsa_kernarg_size 88
		.amdhsa_user_sgpr_count 6
		.amdhsa_user_sgpr_private_segment_buffer 1
		.amdhsa_user_sgpr_dispatch_ptr 0
		.amdhsa_user_sgpr_queue_ptr 0
		.amdhsa_user_sgpr_kernarg_segment_ptr 1
		.amdhsa_user_sgpr_dispatch_id 0
		.amdhsa_user_sgpr_flat_scratch_init 0
		.amdhsa_user_sgpr_private_segment_size 0
		.amdhsa_wavefront_size32 1
		.amdhsa_uses_dynamic_stack 0
		.amdhsa_system_sgpr_private_segment_wavefront_offset 0
		.amdhsa_system_sgpr_workgroup_id_x 1
		.amdhsa_system_sgpr_workgroup_id_y 0
		.amdhsa_system_sgpr_workgroup_id_z 0
		.amdhsa_system_sgpr_workgroup_info 0
		.amdhsa_system_vgpr_workitem_id 0
		.amdhsa_next_free_vgpr 61
		.amdhsa_next_free_sgpr 21
		.amdhsa_reserve_vcc 1
		.amdhsa_reserve_flat_scratch 0
		.amdhsa_float_round_mode_32 0
		.amdhsa_float_round_mode_16_64 0
		.amdhsa_float_denorm_mode_32 3
		.amdhsa_float_denorm_mode_16_64 3
		.amdhsa_dx10_clamp 1
		.amdhsa_ieee_mode 1
		.amdhsa_fp16_overflow 0
		.amdhsa_workgroup_processor_mode 1
		.amdhsa_memory_ordered 1
		.amdhsa_forward_progress 0
		.amdhsa_shared_vgpr_count 0
		.amdhsa_exception_fp_ieee_invalid_op 0
		.amdhsa_exception_fp_denorm_src 0
		.amdhsa_exception_fp_ieee_div_zero 0
		.amdhsa_exception_fp_ieee_overflow 0
		.amdhsa_exception_fp_ieee_underflow 0
		.amdhsa_exception_fp_ieee_inexact 0
		.amdhsa_exception_int_div_zero 0
	.end_amdhsa_kernel
	.text
.Lfunc_end0:
	.size	fft_rtc_fwd_len1584_factors_4_2_2_11_3_3_wgs_176_tpt_176_halfLds_half_ip_CI_unitstride_sbrr_dirReg, .Lfunc_end0-fft_rtc_fwd_len1584_factors_4_2_2_11_3_3_wgs_176_tpt_176_halfLds_half_ip_CI_unitstride_sbrr_dirReg
                                        ; -- End function
	.section	.AMDGPU.csdata,"",@progbits
; Kernel info:
; codeLenInByte = 8392
; NumSgprs: 23
; NumVgprs: 61
; ScratchSize: 0
; MemoryBound: 0
; FloatMode: 240
; IeeeMode: 1
; LDSByteSize: 0 bytes/workgroup (compile time only)
; SGPRBlocks: 2
; VGPRBlocks: 7
; NumSGPRsForWavesPerEU: 23
; NumVGPRsForWavesPerEU: 61
; Occupancy: 15
; WaveLimiterHint : 1
; COMPUTE_PGM_RSRC2:SCRATCH_EN: 0
; COMPUTE_PGM_RSRC2:USER_SGPR: 6
; COMPUTE_PGM_RSRC2:TRAP_HANDLER: 0
; COMPUTE_PGM_RSRC2:TGID_X_EN: 1
; COMPUTE_PGM_RSRC2:TGID_Y_EN: 0
; COMPUTE_PGM_RSRC2:TGID_Z_EN: 0
; COMPUTE_PGM_RSRC2:TIDIG_COMP_CNT: 0
	.text
	.p2alignl 6, 3214868480
	.fill 48, 4, 3214868480
	.type	__hip_cuid_7ced74ae785d2890,@object ; @__hip_cuid_7ced74ae785d2890
	.section	.bss,"aw",@nobits
	.globl	__hip_cuid_7ced74ae785d2890
__hip_cuid_7ced74ae785d2890:
	.byte	0                               ; 0x0
	.size	__hip_cuid_7ced74ae785d2890, 1

	.ident	"AMD clang version 19.0.0git (https://github.com/RadeonOpenCompute/llvm-project roc-6.4.0 25133 c7fe45cf4b819c5991fe208aaa96edf142730f1d)"
	.section	".note.GNU-stack","",@progbits
	.addrsig
	.addrsig_sym __hip_cuid_7ced74ae785d2890
	.amdgpu_metadata
---
amdhsa.kernels:
  - .args:
      - .actual_access:  read_only
        .address_space:  global
        .offset:         0
        .size:           8
        .value_kind:     global_buffer
      - .offset:         8
        .size:           8
        .value_kind:     by_value
      - .actual_access:  read_only
        .address_space:  global
        .offset:         16
        .size:           8
        .value_kind:     global_buffer
      - .actual_access:  read_only
        .address_space:  global
        .offset:         24
        .size:           8
        .value_kind:     global_buffer
      - .offset:         32
        .size:           8
        .value_kind:     by_value
      - .actual_access:  read_only
        .address_space:  global
        .offset:         40
        .size:           8
        .value_kind:     global_buffer
      - .actual_access:  read_only
        .address_space:  global
        .offset:         48
        .size:           8
        .value_kind:     global_buffer
      - .offset:         56
        .size:           4
        .value_kind:     by_value
      - .actual_access:  read_only
        .address_space:  global
        .offset:         64
        .size:           8
        .value_kind:     global_buffer
      - .actual_access:  read_only
        .address_space:  global
        .offset:         72
        .size:           8
        .value_kind:     global_buffer
      - .address_space:  global
        .offset:         80
        .size:           8
        .value_kind:     global_buffer
    .group_segment_fixed_size: 0
    .kernarg_segment_align: 8
    .kernarg_segment_size: 88
    .language:       OpenCL C
    .language_version:
      - 2
      - 0
    .max_flat_workgroup_size: 176
    .name:           fft_rtc_fwd_len1584_factors_4_2_2_11_3_3_wgs_176_tpt_176_halfLds_half_ip_CI_unitstride_sbrr_dirReg
    .private_segment_fixed_size: 0
    .sgpr_count:     23
    .sgpr_spill_count: 0
    .symbol:         fft_rtc_fwd_len1584_factors_4_2_2_11_3_3_wgs_176_tpt_176_halfLds_half_ip_CI_unitstride_sbrr_dirReg.kd
    .uniform_work_group_size: 1
    .uses_dynamic_stack: false
    .vgpr_count:     61
    .vgpr_spill_count: 0
    .wavefront_size: 32
    .workgroup_processor_mode: 1
amdhsa.target:   amdgcn-amd-amdhsa--gfx1030
amdhsa.version:
  - 1
  - 2
...

	.end_amdgpu_metadata
